;; amdgpu-corpus repo=ROCm/rocFFT kind=compiled arch=gfx950 opt=O3
	.text
	.amdgcn_target "amdgcn-amd-amdhsa--gfx950"
	.amdhsa_code_object_version 6
	.protected	fft_rtc_back_len120_factors_6_10_2_wgs_60_tpt_12_halfLds_dp_op_CI_CI_unitstride_sbrr_dirReg ; -- Begin function fft_rtc_back_len120_factors_6_10_2_wgs_60_tpt_12_halfLds_dp_op_CI_CI_unitstride_sbrr_dirReg
	.globl	fft_rtc_back_len120_factors_6_10_2_wgs_60_tpt_12_halfLds_dp_op_CI_CI_unitstride_sbrr_dirReg
	.p2align	8
	.type	fft_rtc_back_len120_factors_6_10_2_wgs_60_tpt_12_halfLds_dp_op_CI_CI_unitstride_sbrr_dirReg,@function
fft_rtc_back_len120_factors_6_10_2_wgs_60_tpt_12_halfLds_dp_op_CI_CI_unitstride_sbrr_dirReg: ; @fft_rtc_back_len120_factors_6_10_2_wgs_60_tpt_12_halfLds_dp_op_CI_CI_unitstride_sbrr_dirReg
; %bb.0:
	s_load_dwordx4 s[4:7], s[0:1], 0x58
	s_load_dwordx4 s[8:11], s[0:1], 0x0
	;; [unrolled: 1-line block ×3, first 2 shown]
	v_mul_u32_u24_e32 v1, 0x1556, v0
	v_lshrrev_b32_e32 v2, 16, v1
	v_mad_u64_u32 v[54:55], s[2:3], s2, 5, v[2:3]
	v_mov_b32_e32 v2, 0
	v_mov_b32_e32 v55, v2
	s_waitcnt lgkmcnt(0)
	v_cmp_lt_u64_e64 s[2:3], s[10:11], 2
	v_mov_b64_e32 v[4:5], 0
	s_and_b64 vcc, exec, s[2:3]
	v_mov_b64_e32 v[48:49], v[4:5]
	v_mov_b64_e32 v[52:53], v[54:55]
	s_cbranch_vccnz .LBB0_8
; %bb.1:
	s_load_dwordx2 s[2:3], s[0:1], 0x10
	s_add_u32 s16, s14, 8
	s_addc_u32 s17, s15, 0
	s_add_u32 s18, s12, 8
	s_addc_u32 s19, s13, 0
	s_waitcnt lgkmcnt(0)
	s_add_u32 s20, s2, 8
	v_mov_b64_e32 v[4:5], 0
	s_addc_u32 s21, s3, 0
	s_mov_b64 s[22:23], 1
	v_mov_b64_e32 v[48:49], v[4:5]
	v_mov_b64_e32 v[6:7], v[54:55]
.LBB0_2:                                ; =>This Inner Loop Header: Depth=1
	s_load_dwordx2 s[24:25], s[20:21], 0x0
                                        ; implicit-def: $vgpr52_vgpr53
	s_waitcnt lgkmcnt(0)
	v_or_b32_e32 v3, s25, v7
	v_cmp_ne_u64_e32 vcc, 0, v[2:3]
	s_and_saveexec_b64 s[2:3], vcc
	s_xor_b64 s[26:27], exec, s[2:3]
	s_cbranch_execz .LBB0_4
; %bb.3:                                ;   in Loop: Header=BB0_2 Depth=1
	v_cvt_f32_u32_e32 v1, s24
	v_cvt_f32_u32_e32 v3, s25
	s_sub_u32 s2, 0, s24
	s_subb_u32 s3, 0, s25
	v_fmac_f32_e32 v1, 0x4f800000, v3
	v_rcp_f32_e32 v1, v1
	s_nop 0
	v_mul_f32_e32 v1, 0x5f7ffffc, v1
	v_mul_f32_e32 v3, 0x2f800000, v1
	v_trunc_f32_e32 v3, v3
	v_fmac_f32_e32 v1, 0xcf800000, v3
	v_cvt_u32_f32_e32 v3, v3
	v_cvt_u32_f32_e32 v1, v1
	v_mul_lo_u32 v8, s2, v3
	v_mul_hi_u32 v10, s2, v1
	v_mul_lo_u32 v9, s3, v1
	v_add_u32_e32 v10, v10, v8
	v_mul_lo_u32 v12, s2, v1
	v_add_u32_e32 v13, v10, v9
	v_mul_hi_u32 v8, v1, v12
	v_mul_hi_u32 v11, v1, v13
	v_mul_lo_u32 v10, v1, v13
	v_mov_b32_e32 v9, v2
	v_lshl_add_u64 v[8:9], v[8:9], 0, v[10:11]
	v_mul_hi_u32 v11, v3, v12
	v_mul_lo_u32 v12, v3, v12
	v_add_co_u32_e32 v8, vcc, v8, v12
	v_mul_hi_u32 v10, v3, v13
	s_nop 0
	v_addc_co_u32_e32 v8, vcc, v9, v11, vcc
	v_mov_b32_e32 v9, v2
	s_nop 0
	v_addc_co_u32_e32 v11, vcc, 0, v10, vcc
	v_mul_lo_u32 v10, v3, v13
	v_lshl_add_u64 v[8:9], v[8:9], 0, v[10:11]
	v_add_co_u32_e32 v1, vcc, v1, v8
	v_mul_lo_u32 v10, s2, v1
	s_nop 0
	v_addc_co_u32_e32 v3, vcc, v3, v9, vcc
	v_mul_lo_u32 v8, s2, v3
	v_mul_hi_u32 v9, s2, v1
	v_add_u32_e32 v8, v9, v8
	v_mul_lo_u32 v9, s3, v1
	v_add_u32_e32 v12, v8, v9
	v_mul_hi_u32 v14, v3, v10
	v_mul_lo_u32 v15, v3, v10
	v_mul_hi_u32 v9, v1, v12
	v_mul_lo_u32 v8, v1, v12
	v_mul_hi_u32 v10, v1, v10
	v_mov_b32_e32 v11, v2
	v_lshl_add_u64 v[8:9], v[10:11], 0, v[8:9]
	v_add_co_u32_e32 v8, vcc, v8, v15
	v_mul_hi_u32 v13, v3, v12
	s_nop 0
	v_addc_co_u32_e32 v8, vcc, v9, v14, vcc
	v_mul_lo_u32 v10, v3, v12
	s_nop 0
	v_addc_co_u32_e32 v11, vcc, 0, v13, vcc
	v_mov_b32_e32 v9, v2
	v_lshl_add_u64 v[8:9], v[8:9], 0, v[10:11]
	v_add_co_u32_e32 v1, vcc, v1, v8
	v_mul_hi_u32 v10, v6, v1
	s_nop 0
	v_addc_co_u32_e32 v3, vcc, v3, v9, vcc
	v_mad_u64_u32 v[8:9], s[2:3], v6, v3, 0
	v_mov_b32_e32 v11, v2
	v_lshl_add_u64 v[8:9], v[10:11], 0, v[8:9]
	v_mad_u64_u32 v[12:13], s[2:3], v7, v1, 0
	v_add_co_u32_e32 v1, vcc, v8, v12
	v_mad_u64_u32 v[10:11], s[2:3], v7, v3, 0
	s_nop 0
	v_addc_co_u32_e32 v8, vcc, v9, v13, vcc
	v_mov_b32_e32 v9, v2
	s_nop 0
	v_addc_co_u32_e32 v11, vcc, 0, v11, vcc
	v_lshl_add_u64 v[8:9], v[8:9], 0, v[10:11]
	v_mul_lo_u32 v1, s25, v8
	v_mul_lo_u32 v3, s24, v9
	v_mad_u64_u32 v[10:11], s[2:3], s24, v8, 0
	v_add3_u32 v1, v11, v3, v1
	v_sub_u32_e32 v3, v7, v1
	v_mov_b32_e32 v11, s25
	v_sub_co_u32_e32 v14, vcc, v6, v10
	v_lshl_add_u64 v[12:13], v[8:9], 0, 1
	s_nop 0
	v_subb_co_u32_e64 v3, s[2:3], v3, v11, vcc
	v_subrev_co_u32_e64 v10, s[2:3], s24, v14
	v_subb_co_u32_e32 v1, vcc, v7, v1, vcc
	s_nop 0
	v_subbrev_co_u32_e64 v3, s[2:3], 0, v3, s[2:3]
	v_cmp_le_u32_e64 s[2:3], s25, v3
	v_cmp_le_u32_e32 vcc, s25, v1
	s_nop 0
	v_cndmask_b32_e64 v11, 0, -1, s[2:3]
	v_cmp_le_u32_e64 s[2:3], s24, v10
	s_nop 1
	v_cndmask_b32_e64 v10, 0, -1, s[2:3]
	v_cmp_eq_u32_e64 s[2:3], s25, v3
	s_nop 1
	v_cndmask_b32_e64 v3, v11, v10, s[2:3]
	v_lshl_add_u64 v[10:11], v[8:9], 0, 2
	v_cmp_ne_u32_e64 s[2:3], 0, v3
	s_nop 1
	v_cndmask_b32_e64 v3, v13, v11, s[2:3]
	v_cndmask_b32_e64 v11, 0, -1, vcc
	v_cmp_le_u32_e32 vcc, s24, v14
	s_nop 1
	v_cndmask_b32_e64 v13, 0, -1, vcc
	v_cmp_eq_u32_e32 vcc, s25, v1
	s_nop 1
	v_cndmask_b32_e32 v1, v11, v13, vcc
	v_cmp_ne_u32_e32 vcc, 0, v1
	v_cndmask_b32_e64 v1, v12, v10, s[2:3]
	s_nop 0
	v_cndmask_b32_e32 v53, v9, v3, vcc
	v_cndmask_b32_e32 v52, v8, v1, vcc
.LBB0_4:                                ;   in Loop: Header=BB0_2 Depth=1
	s_andn2_saveexec_b64 s[2:3], s[26:27]
	s_cbranch_execz .LBB0_6
; %bb.5:                                ;   in Loop: Header=BB0_2 Depth=1
	v_cvt_f32_u32_e32 v1, s24
	s_sub_i32 s26, 0, s24
	v_mov_b32_e32 v53, v2
	v_rcp_iflag_f32_e32 v1, v1
	s_nop 0
	v_mul_f32_e32 v1, 0x4f7ffffe, v1
	v_cvt_u32_f32_e32 v1, v1
	v_mul_lo_u32 v3, s26, v1
	v_mul_hi_u32 v3, v1, v3
	v_add_u32_e32 v1, v1, v3
	v_mul_hi_u32 v1, v6, v1
	v_mul_lo_u32 v3, v1, s24
	v_sub_u32_e32 v3, v6, v3
	v_add_u32_e32 v8, 1, v1
	v_subrev_u32_e32 v9, s24, v3
	v_cmp_le_u32_e32 vcc, s24, v3
	s_nop 1
	v_cndmask_b32_e32 v3, v3, v9, vcc
	v_cndmask_b32_e32 v1, v1, v8, vcc
	v_add_u32_e32 v8, 1, v1
	v_cmp_le_u32_e32 vcc, s24, v3
	s_nop 1
	v_cndmask_b32_e32 v52, v1, v8, vcc
.LBB0_6:                                ;   in Loop: Header=BB0_2 Depth=1
	s_or_b64 exec, exec, s[2:3]
	v_mad_u64_u32 v[8:9], s[2:3], v52, s24, 0
	s_load_dwordx2 s[2:3], s[18:19], 0x0
	v_mul_lo_u32 v1, v53, s24
	v_mul_lo_u32 v3, v52, s25
	s_load_dwordx2 s[24:25], s[16:17], 0x0
	s_add_u32 s22, s22, 1
	v_add3_u32 v1, v9, v3, v1
	v_sub_co_u32_e32 v3, vcc, v6, v8
	s_addc_u32 s23, s23, 0
	s_nop 0
	v_subb_co_u32_e32 v1, vcc, v7, v1, vcc
	s_add_u32 s16, s16, 8
	s_waitcnt lgkmcnt(0)
	v_mul_lo_u32 v6, s2, v1
	v_mul_lo_u32 v7, s3, v3
	v_mad_u64_u32 v[4:5], s[2:3], s2, v3, v[4:5]
	s_addc_u32 s17, s17, 0
	v_add3_u32 v5, v7, v5, v6
	v_mul_lo_u32 v1, s24, v1
	v_mul_lo_u32 v6, s25, v3
	v_mad_u64_u32 v[48:49], s[2:3], s24, v3, v[48:49]
	s_add_u32 s18, s18, 8
	v_add3_u32 v49, v6, v49, v1
	s_addc_u32 s19, s19, 0
	v_mov_b64_e32 v[6:7], s[10:11]
	s_add_u32 s20, s20, 8
	v_cmp_ge_u64_e32 vcc, s[22:23], v[6:7]
	s_addc_u32 s21, s21, 0
	s_cbranch_vccnz .LBB0_8
; %bb.7:                                ;   in Loop: Header=BB0_2 Depth=1
	v_mov_b64_e32 v[6:7], v[52:53]
	s_branch .LBB0_2
.LBB0_8:
	s_load_dwordx2 s[0:1], s[0:1], 0x28
	s_lshl_b64 s[16:17], s[10:11], 3
	s_add_u32 s2, s14, s16
	s_addc_u32 s3, s15, s17
                                        ; implicit-def: $vgpr50
	s_waitcnt lgkmcnt(0)
	v_cmp_gt_u64_e32 vcc, s[0:1], v[52:53]
	v_cmp_le_u64_e64 s[0:1], s[0:1], v[52:53]
	s_and_saveexec_b64 s[10:11], s[0:1]
	s_xor_b64 s[0:1], exec, s[10:11]
; %bb.9:
	s_mov_b32 s10, 0x15555556
	v_mul_hi_u32 v1, v0, s10
	v_mul_u32_u24_e32 v1, 12, v1
	v_sub_u32_e32 v50, v0, v1
                                        ; implicit-def: $vgpr0
                                        ; implicit-def: $vgpr4_vgpr5
; %bb.10:
	s_or_saveexec_b64 s[10:11], s[0:1]
	s_load_dwordx2 s[2:3], s[2:3], 0x0
                                        ; implicit-def: $vgpr26_vgpr27
                                        ; implicit-def: $vgpr30_vgpr31
                                        ; implicit-def: $vgpr18_vgpr19
                                        ; implicit-def: $vgpr14_vgpr15
                                        ; implicit-def: $vgpr6_vgpr7
                                        ; implicit-def: $vgpr2_vgpr3
                                        ; implicit-def: $vgpr42_vgpr43
                                        ; implicit-def: $vgpr46_vgpr47
                                        ; implicit-def: $vgpr38_vgpr39
                                        ; implicit-def: $vgpr34_vgpr35
                                        ; implicit-def: $vgpr22_vgpr23
                                        ; implicit-def: $vgpr10_vgpr11
	s_xor_b64 exec, exec, s[10:11]
	s_cbranch_execz .LBB0_14
; %bb.11:
	s_add_u32 s0, s12, s16
	s_addc_u32 s1, s13, s17
	s_load_dwordx2 s[0:1], s[0:1], 0x0
	s_mov_b32 s12, 0x15555556
                                        ; implicit-def: $vgpr12_vgpr13
                                        ; implicit-def: $vgpr16_vgpr17
                                        ; implicit-def: $vgpr28_vgpr29
                                        ; implicit-def: $vgpr24_vgpr25
	s_waitcnt lgkmcnt(0)
	v_mul_lo_u32 v1, s1, v52
	v_mul_lo_u32 v6, s0, v53
	v_mad_u64_u32 v[2:3], s[0:1], s0, v52, 0
	v_add3_u32 v3, v3, v6, v1
	v_mul_hi_u32 v1, v0, s12
	v_mul_u32_u24_e32 v1, 12, v1
	v_sub_u32_e32 v50, v0, v1
	v_lshl_add_u64 v[0:1], v[2:3], 4, s[4:5]
	v_lshl_add_u64 v[0:1], v[4:5], 4, v[0:1]
	v_lshlrev_b32_e32 v2, 4, v50
	v_mov_b32_e32 v3, 0
	v_lshl_add_u64 v[56:57], v[0:1], 0, v[2:3]
	global_load_dwordx4 v[8:11], v[56:57], off
	global_load_dwordx4 v[20:23], v[56:57], off offset:320
	global_load_dwordx4 v[32:35], v[56:57], off offset:640
	;; [unrolled: 1-line block ×5, first 2 shown]
	v_cmp_gt_u32_e64 s[0:1], 8, v50
                                        ; implicit-def: $vgpr0_vgpr1
                                        ; implicit-def: $vgpr4_vgpr5
	s_and_saveexec_b64 s[4:5], s[0:1]
	s_cbranch_execz .LBB0_13
; %bb.12:
	global_load_dwordx4 v[0:3], v[56:57], off offset:192
	global_load_dwordx4 v[4:7], v[56:57], off offset:512
	;; [unrolled: 1-line block ×6, first 2 shown]
.LBB0_13:
	s_or_b64 exec, exec, s[4:5]
.LBB0_14:
	s_or_b64 exec, exec, s[10:11]
	s_mov_b32 s0, 0xcccccccd
	v_mul_hi_u32 v51, v54, s0
	v_lshrrev_b32_e32 v51, 2, v51
	v_lshl_add_u32 v51, v51, 2, v51
	v_sub_u32_e32 v51, v54, v51
	s_waitcnt vmcnt(3)
	v_add_f64 v[54:55], v[32:33], v[8:9]
	s_waitcnt vmcnt(1)
	v_add_f64 v[58:59], v[44:45], v[54:55]
	v_add_f64 v[54:55], v[44:45], v[32:33]
	s_mov_b32 s10, 0xe8584caa
	v_fmac_f64_e32 v[8:9], -0.5, v[54:55]
	v_add_f64 v[54:55], v[34:35], -v[46:47]
	s_mov_b32 s11, 0xbfebb67a
	s_mov_b32 s5, 0x3febb67a
	;; [unrolled: 1-line block ×3, first 2 shown]
	v_fma_f64 v[64:65], s[10:11], v[54:55], v[8:9]
	v_fmac_f64_e32 v[8:9], s[4:5], v[54:55]
	v_add_f64 v[54:55], v[36:37], v[20:21]
	s_waitcnt vmcnt(0)
	v_add_f64 v[66:67], v[40:41], v[54:55]
	v_add_f64 v[54:55], v[40:41], v[36:37]
	v_fmac_f64_e32 v[20:21], -0.5, v[54:55]
	v_add_f64 v[54:55], v[38:39], -v[42:43]
	v_fma_f64 v[62:63], s[10:11], v[54:55], v[20:21]
	v_fmac_f64_e32 v[20:21], s[4:5], v[54:55]
	v_add_f64 v[54:55], v[42:43], v[38:39]
	v_fma_f64 v[60:61], -0.5, v[54:55], v[22:23]
	v_add_f64 v[40:41], v[36:37], -v[40:41]
	v_fma_f64 v[36:37], s[4:5], v[40:41], v[60:61]
	v_fmac_f64_e32 v[60:61], s[10:11], v[40:41]
	v_mul_f64 v[72:73], v[60:61], s[10:11]
	v_fmac_f64_e32 v[72:73], -0.5, v[20:21]
	v_add_f64 v[54:55], v[66:67], v[58:59]
	v_mul_f64 v[40:41], v[36:37], s[10:11]
	v_add_f64 v[68:69], v[58:59], -v[66:67]
	v_add_f64 v[66:67], v[8:9], v[72:73]
	v_add_f64 v[72:73], v[8:9], -v[72:73]
	v_mul_u32_u24_e32 v8, 6, v50
	v_mul_u32_u24_e32 v51, 0x78, v51
	v_fmac_f64_e32 v[40:41], 0.5, v[62:63]
	v_lshl_add_u32 v8, v8, 3, 0
	v_add_f64 v[56:57], v[64:65], v[40:41]
	v_add_f64 v[70:71], v[64:65], -v[40:41]
	v_lshl_add_u32 v64, v51, 3, v8
	v_add_f64 v[40:41], v[24:25], v[16:17]
	ds_write_b128 v64, v[54:57]
	v_fma_f64 v[40:41], -0.5, v[40:41], v[4:5]
	v_add_f64 v[56:57], v[18:19], -v[26:27]
	v_fma_f64 v[54:55], s[10:11], v[56:57], v[40:41]
	v_fmac_f64_e32 v[40:41], s[4:5], v[56:57]
	v_add_f64 v[56:57], v[26:27], v[18:19]
	ds_write_b128 v64, v[66:69] offset:16
	v_fma_f64 v[56:57], -0.5, v[56:57], v[6:7]
	v_add_f64 v[66:67], v[16:17], -v[24:25]
	v_fma_f64 v[58:59], s[4:5], v[66:67], v[56:57]
	v_fmac_f64_e32 v[56:57], s[10:11], v[66:67]
	v_cmp_gt_u32_e64 s[0:1], 8, v50
	ds_write_b128 v64, v[70:73] offset:32
	s_and_saveexec_b64 s[12:13], s[0:1]
	s_cbranch_execz .LBB0_16
; %bb.15:
	v_add_f64 v[66:67], v[28:29], v[12:13]
	v_fma_f64 v[74:75], -0.5, v[66:67], v[0:1]
	v_add_f64 v[66:67], v[14:15], -v[30:31]
	v_mul_f64 v[76:77], v[56:57], s[10:11]
	v_mul_f64 v[78:79], v[58:59], s[10:11]
	v_add_f64 v[0:1], v[12:13], v[0:1]
	v_add_f64 v[4:5], v[16:17], v[4:5]
	v_fma_f64 v[70:71], s[4:5], v[66:67], v[74:75]
	v_fmac_f64_e32 v[76:77], -0.5, v[40:41]
	v_fmac_f64_e32 v[74:75], s[10:11], v[66:67]
	v_fmac_f64_e32 v[78:79], 0.5, v[54:55]
	v_add_f64 v[0:1], v[28:29], v[0:1]
	v_add_f64 v[4:5], v[24:25], v[4:5]
	v_add_f64 v[68:69], v[70:71], -v[76:77]
	v_add_f64 v[66:67], v[74:75], -v[78:79]
	v_add_f64 v[70:71], v[70:71], v[76:77]
	v_add_f64 v[76:77], v[74:75], v[78:79]
	;; [unrolled: 1-line block ×3, first 2 shown]
	v_add_f64 v[72:73], v[0:1], -v[4:5]
	ds_write_b128 v64, v[74:77] offset:576
	ds_write_b128 v64, v[70:73] offset:592
	;; [unrolled: 1-line block ×3, first 2 shown]
.LBB0_16:
	s_or_b64 exec, exec, s[12:13]
	v_add_f64 v[4:5], v[46:47], v[34:35]
	v_add_f64 v[0:1], v[34:35], v[10:11]
	v_fmac_f64_e32 v[10:11], -0.5, v[4:5]
	v_add_f64 v[4:5], v[32:33], -v[44:45]
	v_fma_f64 v[16:17], s[4:5], v[4:5], v[10:11]
	v_fmac_f64_e32 v[10:11], s[10:11], v[4:5]
	v_add_f64 v[4:5], v[38:39], v[22:23]
	v_add_f64 v[0:1], v[46:47], v[0:1]
	;; [unrolled: 1-line block ×3, first 2 shown]
	v_mul_f64 v[24:25], v[60:61], -0.5
	v_add_f64 v[44:45], v[4:5], v[0:1]
	v_mul_f64 v[22:23], v[62:63], s[4:5]
	v_fmac_f64_e32 v[24:25], s[4:5], v[20:21]
	v_add_f64 v[62:63], v[0:1], -v[4:5]
	v_lshlrev_b32_e32 v42, 3, v51
	v_lshlrev_b32_e32 v0, 3, v50
	v_add_f64 v[60:61], v[10:11], v[24:25]
	v_add_f64 v[68:69], v[10:11], -v[24:25]
	v_add3_u32 v24, 0, v42, v0
	v_mul_i32_i24_e32 v0, 0xffffffd8, v50
	v_fmac_f64_e32 v[22:23], 0.5, v[36:37]
	v_add3_u32 v25, v8, v0, v42
	v_add_f64 v[46:47], v[16:17], v[22:23]
	v_add_f64 v[66:67], v[16:17], -v[22:23]
	s_waitcnt lgkmcnt(0)
	; wave barrier
	s_waitcnt lgkmcnt(0)
	ds_read2_b64 v[36:39], v25 offset0:12 offset1:24
	ds_read2_b64 v[32:35], v25 offset0:36 offset1:48
	;; [unrolled: 1-line block ×4, first 2 shown]
	ds_read_b64 v[0:1], v24
	ds_read_b64 v[4:5], v25 offset:864
	s_waitcnt lgkmcnt(0)
	; wave barrier
	s_waitcnt lgkmcnt(0)
	ds_write_b128 v64, v[44:47]
	ds_write_b128 v64, v[60:63] offset:16
	ds_write_b128 v64, v[66:69] offset:32
	s_and_saveexec_b64 s[4:5], s[0:1]
	s_cbranch_execz .LBB0_18
; %bb.17:
	s_mov_b32 s0, 0xe8584caa
	v_add_f64 v[16:17], v[14:15], v[2:3]
	v_add_f64 v[14:15], v[30:31], v[14:15]
	s_mov_b32 s1, 0x3febb67a
	v_add_f64 v[6:7], v[18:19], v[6:7]
	v_add_f64 v[44:45], v[30:31], v[16:17]
	v_fmac_f64_e32 v[2:3], -0.5, v[14:15]
	v_add_f64 v[12:13], v[12:13], -v[28:29]
	s_mov_b32 s11, 0xbfebb67a
	s_mov_b32 s10, s0
	v_add_f64 v[6:7], v[26:27], v[6:7]
	v_mul_f64 v[26:27], v[54:55], s[0:1]
	v_mul_f64 v[30:31], v[56:57], -0.5
	v_fma_f64 v[28:29], s[0:1], v[12:13], v[2:3]
	v_fmac_f64_e32 v[2:3], s[10:11], v[12:13]
	v_fmac_f64_e32 v[26:27], 0.5, v[58:59]
	v_fmac_f64_e32 v[30:31], s[0:1], v[40:41]
	v_add_f64 v[14:15], v[28:29], v[26:27]
	v_add_f64 v[16:17], v[2:3], v[30:31]
	v_add_f64 v[26:27], v[28:29], -v[26:27]
	v_add_f64 v[28:29], v[2:3], -v[30:31]
	v_add_u32_e32 v2, 12, v50
	v_mul_u32_u24_e32 v2, 6, v2
	v_lshlrev_b32_e32 v2, 3, v2
	v_add_f64 v[12:13], v[6:7], v[44:45]
	v_add3_u32 v2, 0, v2, v42
	v_add_f64 v[18:19], v[44:45], -v[6:7]
	ds_write_b128 v2, v[12:15]
	ds_write_b128 v2, v[16:19] offset:16
	ds_write_b128 v2, v[26:29] offset:32
.LBB0_18:
	s_or_b64 exec, exec, s[4:5]
	v_add_u32_e32 v2, -6, v50
	v_cmp_gt_u32_e64 s[0:1], 6, v50
	v_mov_b32_e32 v17, 0
	s_waitcnt lgkmcnt(0)
	v_cndmask_b32_e64 v43, v2, v50, s[0:1]
	v_mul_i32_i24_e32 v16, 9, v43
	v_lshl_add_u64 v[2:3], v[16:17], 4, s[8:9]
	; wave barrier
	global_load_dwordx4 v[12:15], v[2:3], off
	global_load_dwordx4 v[26:29], v[2:3], off offset:16
	global_load_dwordx4 v[44:47], v[2:3], off offset:32
	;; [unrolled: 1-line block ×8, first 2 shown]
	ds_read2_b64 v[78:81], v25 offset0:12 offset1:24
	ds_read2_b64 v[82:85], v25 offset0:36 offset1:48
	s_mov_b32 s10, 0x134454ff
	s_mov_b32 s11, 0xbfee6f0e
	;; [unrolled: 1-line block ×12, first 2 shown]
	s_waitcnt vmcnt(8) lgkmcnt(1)
	v_mul_f64 v[2:3], v[78:79], v[14:15]
	v_mul_f64 v[6:7], v[36:37], v[14:15]
	v_fmac_f64_e32 v[2:3], v[36:37], v[12:13]
	v_fma_f64 v[12:13], v[78:79], v[12:13], -v[6:7]
	s_waitcnt vmcnt(7)
	v_mul_f64 v[14:15], v[80:81], v[28:29]
	v_mul_f64 v[6:7], v[38:39], v[28:29]
	ds_read2_b64 v[28:31], v25 offset0:60 offset1:72
	v_fmac_f64_e32 v[14:15], v[38:39], v[26:27]
	v_fma_f64 v[18:19], v[80:81], v[26:27], -v[6:7]
	ds_read2_b64 v[36:39], v25 offset0:84 offset1:96
	s_waitcnt vmcnt(6) lgkmcnt(2)
	v_mul_f64 v[26:27], v[82:83], v[46:47]
	v_mul_f64 v[6:7], v[32:33], v[46:47]
	s_waitcnt vmcnt(5)
	v_mul_f64 v[40:41], v[84:85], v[56:57]
	v_fmac_f64_e32 v[26:27], v[32:33], v[44:45]
	v_fma_f64 v[32:33], v[82:83], v[44:45], -v[6:7]
	v_mul_f64 v[44:45], v[34:35], v[56:57]
	v_fmac_f64_e32 v[40:41], v[34:35], v[54:55]
	ds_read_b64 v[6:7], v24
	ds_read_b64 v[34:35], v25 offset:864
	v_fma_f64 v[44:45], v[84:85], v[54:55], -v[44:45]
	s_waitcnt vmcnt(4) lgkmcnt(3)
	v_mul_f64 v[46:47], v[28:29], v[60:61]
	v_mul_f64 v[54:55], v[20:21], v[60:61]
	s_waitcnt vmcnt(3)
	v_mul_f64 v[56:57], v[30:31], v[64:65]
	v_mul_f64 v[60:61], v[22:23], v[64:65]
	v_fmac_f64_e32 v[46:47], v[20:21], v[58:59]
	v_fma_f64 v[20:21], v[28:29], v[58:59], -v[54:55]
	s_waitcnt vmcnt(2) lgkmcnt(2)
	v_mul_f64 v[28:29], v[36:37], v[68:69]
	v_mul_f64 v[54:55], v[8:9], v[68:69]
	v_fmac_f64_e32 v[56:57], v[22:23], v[62:63]
	s_waitcnt vmcnt(1)
	v_mul_f64 v[22:23], v[38:39], v[72:73]
	v_mul_f64 v[58:59], v[10:11], v[72:73]
	v_fma_f64 v[30:31], v[30:31], v[62:63], -v[60:61]
	s_waitcnt vmcnt(0) lgkmcnt(0)
	v_mul_f64 v[60:61], v[34:35], v[76:77]
	v_mul_f64 v[62:63], v[4:5], v[76:77]
	v_fmac_f64_e32 v[28:29], v[8:9], v[66:67]
	v_fma_f64 v[8:9], v[36:37], v[66:67], -v[54:55]
	v_fmac_f64_e32 v[22:23], v[10:11], v[70:71]
	v_fma_f64 v[10:11], v[38:39], v[70:71], -v[58:59]
	v_add_f64 v[36:37], v[40:41], v[56:57]
	v_fmac_f64_e32 v[60:61], v[4:5], v[74:75]
	v_fma_f64 v[4:5], v[34:35], v[74:75], -v[62:63]
	v_add_f64 v[38:39], v[18:19], -v[10:11]
	v_add_f64 v[58:59], v[14:15], -v[40:41]
	;; [unrolled: 1-line block ×3, first 2 shown]
	v_fma_f64 v[36:37], -0.5, v[36:37], v[0:1]
	v_add_f64 v[54:55], v[44:45], -v[30:31]
	v_add_f64 v[64:65], v[14:15], v[22:23]
	v_add_f64 v[58:59], v[58:59], v[62:63]
	v_fma_f64 v[62:63], s[10:11], v[38:39], v[36:37]
	v_fmac_f64_e32 v[36:37], s[4:5], v[38:39]
	v_add_f64 v[34:35], v[0:1], v[14:15]
	v_fmac_f64_e32 v[0:1], -0.5, v[64:65]
	v_fmac_f64_e32 v[62:63], s[12:13], v[54:55]
	v_fmac_f64_e32 v[36:37], s[14:15], v[54:55]
	v_add_f64 v[66:67], v[40:41], -v[14:15]
	v_add_f64 v[34:35], v[34:35], v[40:41]
	v_fma_f64 v[64:65], s[4:5], v[54:55], v[0:1]
	v_fmac_f64_e32 v[62:63], s[0:1], v[58:59]
	v_fmac_f64_e32 v[36:37], s[0:1], v[58:59]
	v_add_f64 v[58:59], v[56:57], -v[22:23]
	v_fmac_f64_e32 v[0:1], s[10:11], v[54:55]
	v_add_f64 v[54:55], v[44:45], v[30:31]
	v_add_f64 v[34:35], v[34:35], v[56:57]
	v_fmac_f64_e32 v[64:65], s[12:13], v[38:39]
	v_add_f64 v[58:59], v[66:67], v[58:59]
	v_fmac_f64_e32 v[0:1], s[14:15], v[38:39]
	v_fma_f64 v[54:55], -0.5, v[54:55], v[6:7]
	v_add_f64 v[14:15], v[14:15], -v[22:23]
	v_add_f64 v[34:35], v[34:35], v[22:23]
	v_fmac_f64_e32 v[64:65], s[0:1], v[58:59]
	v_fmac_f64_e32 v[0:1], s[0:1], v[58:59]
	v_fma_f64 v[22:23], s[4:5], v[14:15], v[54:55]
	v_add_f64 v[40:41], v[40:41], -v[56:57]
	v_add_f64 v[56:57], v[18:19], -v[44:45]
	;; [unrolled: 1-line block ×3, first 2 shown]
	v_fmac_f64_e32 v[54:55], s[10:11], v[14:15]
	v_fmac_f64_e32 v[22:23], s[14:15], v[40:41]
	v_add_f64 v[56:57], v[56:57], v[58:59]
	v_fmac_f64_e32 v[54:55], s[12:13], v[40:41]
	v_add_f64 v[38:39], v[6:7], v[18:19]
	v_fmac_f64_e32 v[22:23], s[0:1], v[56:57]
	v_fmac_f64_e32 v[54:55], s[0:1], v[56:57]
	v_add_f64 v[56:57], v[18:19], v[10:11]
	v_add_f64 v[38:39], v[38:39], v[44:45]
	v_fmac_f64_e32 v[6:7], -0.5, v[56:57]
	v_add_f64 v[38:39], v[38:39], v[30:31]
	v_fma_f64 v[56:57], s[10:11], v[40:41], v[6:7]
	v_fmac_f64_e32 v[6:7], s[4:5], v[40:41]
	v_add_f64 v[38:39], v[38:39], v[10:11]
	v_fmac_f64_e32 v[56:57], s[14:15], v[14:15]
	v_add_f64 v[18:19], v[44:45], -v[18:19]
	v_add_f64 v[10:11], v[30:31], -v[10:11]
	v_fmac_f64_e32 v[6:7], s[12:13], v[14:15]
	v_add_f64 v[14:15], v[46:47], v[28:29]
	v_add_f64 v[10:11], v[18:19], v[10:11]
	v_fma_f64 v[14:15], -0.5, v[14:15], v[2:3]
	v_add_f64 v[18:19], v[32:33], -v[4:5]
	v_fma_f64 v[30:31], s[10:11], v[18:19], v[14:15]
	v_add_f64 v[40:41], v[20:21], -v[8:9]
	v_add_f64 v[44:45], v[26:27], -v[46:47]
	;; [unrolled: 1-line block ×3, first 2 shown]
	v_fmac_f64_e32 v[14:15], s[4:5], v[18:19]
	v_fmac_f64_e32 v[30:31], s[12:13], v[40:41]
	v_add_f64 v[44:45], v[44:45], v[58:59]
	v_fmac_f64_e32 v[14:15], s[14:15], v[40:41]
	v_fmac_f64_e32 v[30:31], s[0:1], v[44:45]
	;; [unrolled: 1-line block ×3, first 2 shown]
	v_add_f64 v[44:45], v[26:27], v[60:61]
	v_fmac_f64_e32 v[56:57], s[0:1], v[10:11]
	v_fmac_f64_e32 v[6:7], s[0:1], v[10:11]
	v_add_f64 v[10:11], v[2:3], v[26:27]
	v_fmac_f64_e32 v[2:3], -0.5, v[44:45]
	v_add_f64 v[10:11], v[10:11], v[46:47]
	v_fma_f64 v[44:45], s[4:5], v[40:41], v[2:3]
	v_add_f64 v[58:59], v[46:47], -v[26:27]
	v_add_f64 v[66:67], v[28:29], -v[60:61]
	v_fmac_f64_e32 v[2:3], s[10:11], v[40:41]
	v_add_f64 v[40:41], v[20:21], v[8:9]
	v_add_f64 v[10:11], v[10:11], v[28:29]
	v_fmac_f64_e32 v[44:45], s[12:13], v[18:19]
	v_add_f64 v[58:59], v[58:59], v[66:67]
	v_fmac_f64_e32 v[2:3], s[14:15], v[18:19]
	v_fma_f64 v[40:41], -0.5, v[40:41], v[12:13]
	v_add_f64 v[26:27], v[26:27], -v[60:61]
	v_add_f64 v[10:11], v[10:11], v[60:61]
	v_fmac_f64_e32 v[44:45], s[0:1], v[58:59]
	v_fmac_f64_e32 v[2:3], s[0:1], v[58:59]
	v_fma_f64 v[58:59], s[4:5], v[26:27], v[40:41]
	v_add_f64 v[28:29], v[46:47], -v[28:29]
	v_add_f64 v[46:47], v[32:33], -v[20:21]
	;; [unrolled: 1-line block ×3, first 2 shown]
	v_fmac_f64_e32 v[40:41], s[10:11], v[26:27]
	v_add_f64 v[18:19], v[12:13], v[32:33]
	v_fmac_f64_e32 v[58:59], s[14:15], v[28:29]
	v_add_f64 v[46:47], v[46:47], v[60:61]
	;; [unrolled: 2-line block ×3, first 2 shown]
	v_fmac_f64_e32 v[58:59], s[0:1], v[46:47]
	v_fmac_f64_e32 v[40:41], s[0:1], v[46:47]
	v_add_f64 v[46:47], v[32:33], v[4:5]
	v_add_f64 v[18:19], v[18:19], v[8:9]
	v_fmac_f64_e32 v[12:13], -0.5, v[46:47]
	v_add_f64 v[18:19], v[18:19], v[4:5]
	v_fma_f64 v[46:47], s[10:11], v[28:29], v[12:13]
	v_add_f64 v[20:21], v[20:21], -v[32:33]
	v_add_f64 v[4:5], v[8:9], -v[4:5]
	v_fmac_f64_e32 v[12:13], s[4:5], v[28:29]
	v_fmac_f64_e32 v[46:47], s[14:15], v[26:27]
	v_add_f64 v[4:5], v[20:21], v[4:5]
	v_fmac_f64_e32 v[12:13], s[12:13], v[26:27]
	v_fmac_f64_e32 v[46:47], s[0:1], v[4:5]
	;; [unrolled: 1-line block ×3, first 2 shown]
	v_mul_f64 v[26:27], v[46:47], s[10:11]
	v_mul_f64 v[32:33], v[12:13], s[10:11]
	s_mov_b32 s11, 0xbfd3c6ef
	s_mov_b32 s10, s0
	v_mul_f64 v[8:9], v[58:59], s[12:13]
	v_mul_f64 v[66:67], v[40:41], s[12:13]
	s_mov_b32 s13, 0xbfe9e377
	s_mov_b32 s12, s16
	v_mul_f64 v[12:13], v[12:13], s[10:11]
	v_fmac_f64_e32 v[32:33], s[10:11], v[2:3]
	v_fmac_f64_e32 v[12:13], s[4:5], v[2:3]
	v_mul_f64 v[2:3], v[40:41], s[12:13]
	v_fmac_f64_e32 v[2:3], s[14:15], v[14:15]
	v_fmac_f64_e32 v[26:27], s[0:1], v[44:45]
	v_add_f64 v[60:61], v[0:1], v[32:33]
	v_add_f64 v[70:71], v[38:39], v[18:19]
	v_mul_f64 v[46:47], v[46:47], s[0:1]
	v_add_f64 v[40:41], v[54:55], v[2:3]
	v_add_f64 v[0:1], v[0:1], -v[32:33]
	v_add_f64 v[32:33], v[38:39], -v[18:19]
	;; [unrolled: 1-line block ×3, first 2 shown]
	v_mov_b32_e32 v2, 0x1e0
	v_cmp_lt_u32_e64 s[0:1], 5, v50
	v_fmac_f64_e32 v[8:9], s[16:17], v[30:31]
	v_lshlrev_b32_e32 v3, 3, v43
	v_cndmask_b32_e64 v2, 0, v2, s[0:1]
	v_add_u32_e32 v2, 0, v2
	v_add_f64 v[4:5], v[34:35], v[10:11]
	v_add_f64 v[20:21], v[62:63], v[8:9]
	v_fmac_f64_e32 v[66:67], s[12:13], v[14:15]
	v_add_f64 v[10:11], v[34:35], -v[10:11]
	v_add_f64 v[8:9], v[62:63], -v[8:9]
	;; [unrolled: 1-line block ×3, first 2 shown]
	v_add3_u32 v16, v2, v3, v42
	v_add_f64 v[28:29], v[64:65], v[26:27]
	v_add_f64 v[68:69], v[36:37], v[66:67]
	;; [unrolled: 1-line block ×3, first 2 shown]
	v_add_f64 v[26:27], v[36:37], -v[66:67]
	v_add_f64 v[36:37], v[6:7], -v[12:13]
	s_waitcnt lgkmcnt(0)
	; wave barrier
	ds_write2_b64 v16, v[4:5], v[20:21] offset1:6
	ds_write2_b64 v16, v[28:29], v[60:61] offset0:12 offset1:18
	ds_write2_b64 v16, v[68:69], v[10:11] offset0:24 offset1:30
	;; [unrolled: 1-line block ×4, first 2 shown]
	s_waitcnt lgkmcnt(0)
	; wave barrier
	s_waitcnt lgkmcnt(0)
	ds_read2_b64 v[8:11], v25 offset0:60 offset1:72
	ds_read2_b64 v[0:3], v25 offset0:12 offset1:24
	ds_read2_b64 v[12:15], v25 offset0:84 offset1:96
	ds_read2_b64 v[4:7], v25 offset0:36 offset1:48
	ds_read_b64 v[18:19], v24
	ds_read_b64 v[20:21], v25 offset:864
	v_mul_f64 v[58:59], v[58:59], s[16:17]
	v_fmac_f64_e32 v[58:59], s[14:15], v[30:31]
	v_add_f64 v[30:31], v[22:23], v[58:59]
	v_fmac_f64_e32 v[46:47], s[4:5], v[44:45]
	v_add_f64 v[44:45], v[56:57], v[46:47]
	v_add_f64 v[22:23], v[22:23], -v[58:59]
	v_add_f64 v[34:35], v[56:57], -v[46:47]
	s_waitcnt lgkmcnt(0)
	; wave barrier
	s_waitcnt lgkmcnt(0)
	ds_write2_b64 v16, v[70:71], v[30:31] offset1:6
	ds_write2_b64 v16, v[44:45], v[72:73] offset0:12 offset1:18
	ds_write2_b64 v16, v[40:41], v[32:33] offset0:24 offset1:30
	;; [unrolled: 1-line block ×4, first 2 shown]
	s_waitcnt lgkmcnt(0)
	; wave barrier
	s_waitcnt lgkmcnt(0)
	s_and_saveexec_b64 s[0:1], vcc
	s_cbranch_execz .LBB0_20
; %bb.19:
	v_mov_b32_e32 v51, v17
	v_lshl_add_u64 v[22:23], v[50:51], 4, s[8:9]
	global_load_dwordx4 v[26:29], v[22:23], off offset:1440
	global_load_dwordx4 v[30:33], v[22:23], off offset:1248
	;; [unrolled: 1-line block ×5, first 2 shown]
	v_mul_lo_u32 v16, s3, v52
	v_mul_lo_u32 v51, s2, v53
	v_mad_u64_u32 v[22:23], s[0:1], s2, v52, 0
	ds_read2_b64 v[52:55], v25 offset0:36 offset1:48
	ds_read2_b64 v[56:59], v25 offset0:84 offset1:96
	;; [unrolled: 1-line block ×4, first 2 shown]
	ds_read_b64 v[46:47], v25 offset:864
	ds_read_b64 v[68:69], v24
	s_mov_b32 s2, 0x88888889
	v_add_u32_e32 v24, 12, v50
	v_add3_u32 v23, v23, v51, v16
	v_mul_hi_u32 v25, v24, s2
	v_mul_hi_u32 v16, v50, s2
	v_lshl_add_u64 v[22:23], v[22:23], 4, s[6:7]
	v_lshrrev_b32_e32 v25, 5, v25
	v_lshrrev_b32_e32 v16, 5, v16
	v_lshl_add_u64 v[48:49], v[48:49], 4, v[22:23]
	v_mul_lo_u32 v22, v25, 60
	s_movk_i32 s3, 0x78
	v_mul_lo_u32 v16, v16, 60
	v_sub_u32_e32 v22, v24, v22
	v_sub_u32_e32 v16, v50, v16
	v_mad_u64_u32 v[22:23], s[0:1], v25, s3, v[22:23]
	v_lshlrev_b32_e32 v16, 4, v16
	v_mov_b32_e32 v23, v17
	v_add_u32_e32 v72, 24, v50
	v_lshl_add_u64 v[70:71], v[22:23], 4, v[48:49]
	v_mul_hi_u32 v51, v72, s2
	v_lshrrev_b32_e32 v51, 5, v51
	v_mul_lo_u32 v73, v51, 60
	s_waitcnt vmcnt(4)
	v_mul_f64 v[24:25], v[14:15], v[28:29]
	s_waitcnt lgkmcnt(4)
	v_mul_f64 v[28:29], v[58:59], v[28:29]
	v_fma_f64 v[24:25], v[58:59], v[26:27], -v[24:25]
	v_fmac_f64_e32 v[28:29], v[14:15], v[26:27]
	s_waitcnt vmcnt(3)
	v_mul_f64 v[14:15], v[12:13], v[32:33]
	v_mul_f64 v[26:27], v[56:57], v[32:33]
	v_lshl_add_u64 v[58:59], v[48:49], 0, v[16:17]
	v_add_u32_e32 v16, 60, v22
	v_fma_f64 v[22:23], v[56:57], v[30:31], -v[14:15]
	v_fmac_f64_e32 v[26:27], v[12:13], v[30:31]
	s_waitcnt vmcnt(2)
	v_mul_f64 v[12:13], v[20:21], v[36:37]
	s_waitcnt lgkmcnt(1)
	v_mul_f64 v[14:15], v[46:47], v[36:37]
	s_waitcnt vmcnt(1)
	v_mul_f64 v[32:33], v[66:67], v[40:41]
	v_mul_f64 v[30:31], v[10:11], v[40:41]
	v_fma_f64 v[12:13], v[46:47], v[34:35], -v[12:13]
	s_waitcnt vmcnt(0)
	v_mul_f64 v[36:37], v[8:9], v[44:45]
	v_fmac_f64_e32 v[14:15], v[20:21], v[34:35]
	v_mul_f64 v[34:35], v[64:65], v[44:45]
	v_fmac_f64_e32 v[32:33], v[10:11], v[38:39]
	v_fma_f64 v[30:31], v[66:67], v[38:39], -v[30:31]
	v_fma_f64 v[36:37], v[64:65], v[42:43], -v[36:37]
	v_fmac_f64_e32 v[34:35], v[8:9], v[42:43]
	v_add_f64 v[8:9], v[6:7], -v[14:15]
	v_add_f64 v[14:15], v[52:53], -v[24:25]
	;; [unrolled: 1-line block ×7, first 2 shown]
	s_waitcnt lgkmcnt(0)
	v_add_f64 v[30:31], v[68:69], -v[36:37]
	v_add_f64 v[28:29], v[18:19], -v[34:35]
	v_fma_f64 v[0:1], v[0:1], 2.0, -v[24:25]
	v_lshl_add_u64 v[56:57], v[16:17], 4, v[48:49]
	v_fma_f64 v[36:37], v[2:3], 2.0, -v[20:21]
	v_fma_f64 v[2:3], v[60:61], 2.0, -v[26:27]
	;; [unrolled: 1-line block ×4, first 2 shown]
	global_store_dwordx4 v[58:59], v[28:31], off offset:960
	global_store_dwordx4 v[58:59], v[40:43], off
	global_store_dwordx4 v[70:71], v[0:3], off
	global_store_dwordx4 v[56:57], v[24:27], off
	v_add_f64 v[22:23], v[62:63], -v[22:23]
	v_sub_u32_e32 v0, v72, v73
	v_mad_u64_u32 v[0:1], s[0:1], v51, s3, v[0:1]
	v_mov_b32_e32 v1, v17
	v_add_u32_e32 v16, 60, v0
	v_lshl_add_u64 v[2:3], v[0:1], 4, v[48:49]
	v_lshl_add_u64 v[0:1], v[16:17], 4, v[48:49]
	global_store_dwordx4 v[0:1], v[20:23], off
	v_add_u32_e32 v0, 36, v50
	v_mul_hi_u32 v1, v0, s2
	v_fma_f64 v[38:39], v[62:63], 2.0, -v[22:23]
	v_lshrrev_b32_e32 v1, 5, v1
	global_store_dwordx4 v[2:3], v[36:39], off
	v_mul_lo_u32 v2, v1, 60
	v_sub_u32_e32 v0, v0, v2
	v_mad_u64_u32 v[0:1], s[0:1], v1, s3, v[0:1]
	v_mov_b32_e32 v1, v17
	v_add_u32_e32 v16, 60, v0
	v_lshl_add_u64 v[2:3], v[0:1], 4, v[48:49]
	v_lshl_add_u64 v[0:1], v[16:17], 4, v[48:49]
	global_store_dwordx4 v[0:1], v[12:15], off
	v_add_u32_e32 v0, 48, v50
	v_mul_hi_u32 v1, v0, s2
	v_fma_f64 v[32:33], v[6:7], 2.0, -v[8:9]
	v_fma_f64 v[6:7], v[52:53], 2.0, -v[14:15]
	;; [unrolled: 1-line block ×3, first 2 shown]
	v_lshrrev_b32_e32 v1, 5, v1
	global_store_dwordx4 v[2:3], v[4:7], off
	v_mul_lo_u32 v2, v1, 60
	v_sub_u32_e32 v0, v0, v2
	v_mad_u64_u32 v[0:1], s[0:1], v1, s3, v[0:1]
	v_mov_b32_e32 v1, v17
	v_add_u32_e32 v16, 60, v0
	v_fma_f64 v[34:35], v[54:55], 2.0, -v[10:11]
	v_lshl_add_u64 v[2:3], v[0:1], 4, v[48:49]
	v_lshl_add_u64 v[0:1], v[16:17], 4, v[48:49]
	global_store_dwordx4 v[2:3], v[32:35], off
	global_store_dwordx4 v[0:1], v[8:11], off
.LBB0_20:
	s_endpgm
	.section	.rodata,"a",@progbits
	.p2align	6, 0x0
	.amdhsa_kernel fft_rtc_back_len120_factors_6_10_2_wgs_60_tpt_12_halfLds_dp_op_CI_CI_unitstride_sbrr_dirReg
		.amdhsa_group_segment_fixed_size 0
		.amdhsa_private_segment_fixed_size 0
		.amdhsa_kernarg_size 104
		.amdhsa_user_sgpr_count 2
		.amdhsa_user_sgpr_dispatch_ptr 0
		.amdhsa_user_sgpr_queue_ptr 0
		.amdhsa_user_sgpr_kernarg_segment_ptr 1
		.amdhsa_user_sgpr_dispatch_id 0
		.amdhsa_user_sgpr_kernarg_preload_length 0
		.amdhsa_user_sgpr_kernarg_preload_offset 0
		.amdhsa_user_sgpr_private_segment_size 0
		.amdhsa_uses_dynamic_stack 0
		.amdhsa_enable_private_segment 0
		.amdhsa_system_sgpr_workgroup_id_x 1
		.amdhsa_system_sgpr_workgroup_id_y 0
		.amdhsa_system_sgpr_workgroup_id_z 0
		.amdhsa_system_sgpr_workgroup_info 0
		.amdhsa_system_vgpr_workitem_id 0
		.amdhsa_next_free_vgpr 86
		.amdhsa_next_free_sgpr 28
		.amdhsa_accum_offset 88
		.amdhsa_reserve_vcc 1
		.amdhsa_float_round_mode_32 0
		.amdhsa_float_round_mode_16_64 0
		.amdhsa_float_denorm_mode_32 3
		.amdhsa_float_denorm_mode_16_64 3
		.amdhsa_dx10_clamp 1
		.amdhsa_ieee_mode 1
		.amdhsa_fp16_overflow 0
		.amdhsa_tg_split 0
		.amdhsa_exception_fp_ieee_invalid_op 0
		.amdhsa_exception_fp_denorm_src 0
		.amdhsa_exception_fp_ieee_div_zero 0
		.amdhsa_exception_fp_ieee_overflow 0
		.amdhsa_exception_fp_ieee_underflow 0
		.amdhsa_exception_fp_ieee_inexact 0
		.amdhsa_exception_int_div_zero 0
	.end_amdhsa_kernel
	.text
.Lfunc_end0:
	.size	fft_rtc_back_len120_factors_6_10_2_wgs_60_tpt_12_halfLds_dp_op_CI_CI_unitstride_sbrr_dirReg, .Lfunc_end0-fft_rtc_back_len120_factors_6_10_2_wgs_60_tpt_12_halfLds_dp_op_CI_CI_unitstride_sbrr_dirReg
                                        ; -- End function
	.section	.AMDGPU.csdata,"",@progbits
; Kernel info:
; codeLenInByte = 5128
; NumSgprs: 34
; NumVgprs: 86
; NumAgprs: 0
; TotalNumVgprs: 86
; ScratchSize: 0
; MemoryBound: 1
; FloatMode: 240
; IeeeMode: 1
; LDSByteSize: 0 bytes/workgroup (compile time only)
; SGPRBlocks: 4
; VGPRBlocks: 10
; NumSGPRsForWavesPerEU: 34
; NumVGPRsForWavesPerEU: 86
; AccumOffset: 88
; Occupancy: 5
; WaveLimiterHint : 1
; COMPUTE_PGM_RSRC2:SCRATCH_EN: 0
; COMPUTE_PGM_RSRC2:USER_SGPR: 2
; COMPUTE_PGM_RSRC2:TRAP_HANDLER: 0
; COMPUTE_PGM_RSRC2:TGID_X_EN: 1
; COMPUTE_PGM_RSRC2:TGID_Y_EN: 0
; COMPUTE_PGM_RSRC2:TGID_Z_EN: 0
; COMPUTE_PGM_RSRC2:TIDIG_COMP_CNT: 0
; COMPUTE_PGM_RSRC3_GFX90A:ACCUM_OFFSET: 21
; COMPUTE_PGM_RSRC3_GFX90A:TG_SPLIT: 0
	.text
	.p2alignl 6, 3212836864
	.fill 256, 4, 3212836864
	.type	__hip_cuid_c70fd0a1f8798563,@object ; @__hip_cuid_c70fd0a1f8798563
	.section	.bss,"aw",@nobits
	.globl	__hip_cuid_c70fd0a1f8798563
__hip_cuid_c70fd0a1f8798563:
	.byte	0                               ; 0x0
	.size	__hip_cuid_c70fd0a1f8798563, 1

	.ident	"AMD clang version 19.0.0git (https://github.com/RadeonOpenCompute/llvm-project roc-6.4.0 25133 c7fe45cf4b819c5991fe208aaa96edf142730f1d)"
	.section	".note.GNU-stack","",@progbits
	.addrsig
	.addrsig_sym __hip_cuid_c70fd0a1f8798563
	.amdgpu_metadata
---
amdhsa.kernels:
  - .agpr_count:     0
    .args:
      - .actual_access:  read_only
        .address_space:  global
        .offset:         0
        .size:           8
        .value_kind:     global_buffer
      - .offset:         8
        .size:           8
        .value_kind:     by_value
      - .actual_access:  read_only
        .address_space:  global
        .offset:         16
        .size:           8
        .value_kind:     global_buffer
      - .actual_access:  read_only
        .address_space:  global
        .offset:         24
        .size:           8
        .value_kind:     global_buffer
      - .actual_access:  read_only
        .address_space:  global
        .offset:         32
        .size:           8
        .value_kind:     global_buffer
      - .offset:         40
        .size:           8
        .value_kind:     by_value
      - .actual_access:  read_only
        .address_space:  global
        .offset:         48
        .size:           8
        .value_kind:     global_buffer
      - .actual_access:  read_only
        .address_space:  global
        .offset:         56
        .size:           8
        .value_kind:     global_buffer
      - .offset:         64
        .size:           4
        .value_kind:     by_value
      - .actual_access:  read_only
        .address_space:  global
        .offset:         72
        .size:           8
        .value_kind:     global_buffer
      - .actual_access:  read_only
        .address_space:  global
        .offset:         80
        .size:           8
        .value_kind:     global_buffer
      - .actual_access:  read_only
        .address_space:  global
        .offset:         88
        .size:           8
        .value_kind:     global_buffer
      - .actual_access:  write_only
        .address_space:  global
        .offset:         96
        .size:           8
        .value_kind:     global_buffer
    .group_segment_fixed_size: 0
    .kernarg_segment_align: 8
    .kernarg_segment_size: 104
    .language:       OpenCL C
    .language_version:
      - 2
      - 0
    .max_flat_workgroup_size: 60
    .name:           fft_rtc_back_len120_factors_6_10_2_wgs_60_tpt_12_halfLds_dp_op_CI_CI_unitstride_sbrr_dirReg
    .private_segment_fixed_size: 0
    .sgpr_count:     34
    .sgpr_spill_count: 0
    .symbol:         fft_rtc_back_len120_factors_6_10_2_wgs_60_tpt_12_halfLds_dp_op_CI_CI_unitstride_sbrr_dirReg.kd
    .uniform_work_group_size: 1
    .uses_dynamic_stack: false
    .vgpr_count:     86
    .vgpr_spill_count: 0
    .wavefront_size: 64
amdhsa.target:   amdgcn-amd-amdhsa--gfx950
amdhsa.version:
  - 1
  - 2
...

	.end_amdgpu_metadata
